;; amdgpu-corpus repo=llvm/llvm-project kind=harvested arch=n/a opt=n/a
// NOTE: Assertions have been autogenerated by utils/update_mc_test_checks.py UTC_ARGS: --version 6
// RUN: llvm-mc -triple=amdgcn -mcpu=gfx1310 -show-encoding < %s | FileCheck -check-prefix=GFX13 %s
// RUN: llvm-mc -triple=amdgcn -mcpu=gfx1310 -show-encoding < %s | %extract-encodings | llvm-mc -triple=amdgcn -mcpu=gfx1310 -disassemble -show-encoding | FileCheck -check-prefix=GFX13 %s

flat_atomic_add v[0:1], v2
// GFX13: flat_atomic_add_u32 v[0:1], v2          ; encoding: [0x7c,0x80,0x0c,0xec,0x00,0x00,0x00,0x01,0x00,0x00,0x00,0x00]

flat_atomic_add_x2 v[0:1], v[2:3]
// GFX13: flat_atomic_add_u64 v[0:1], v[2:3]      ; encoding: [0x7c,0x80,0x14,0xec,0x00,0x00,0x00,0x01,0x00,0x00,0x00,0x00]

flat_atomic_and v[0:1], v2
// GFX13: flat_atomic_and_b32 v[0:1], v2          ; encoding: [0x7c,0x40,0x0e,0xec,0x00,0x00,0x00,0x01,0x00,0x00,0x00,0x00]

flat_atomic_and_x2 v[0:1], v[2:3]
// GFX13: flat_atomic_and_b64 v[0:1], v[2:3]      ; encoding: [0x7c,0x40,0x16,0xec,0x00,0x00,0x00,0x01,0x00,0x00,0x00,0x00]

flat_atomic_cmpswap v[0:1], v[2:3]
// GFX13: flat_atomic_cmpswap_b32 v[0:1], v[2:3]  ; encoding: [0x7c,0x40,0x0c,0xec,0x00,0x00,0x00,0x01,0x00,0x00,0x00,0x00]

flat_atomic_cmpswap_x2 v[0:1], v[2:5]
// GFX13: flat_atomic_cmpswap_b64 v[0:1], v[2:5]  ; encoding: [0x7c,0x40,0x14,0xec,0x00,0x00,0x00,0x01,0x00,0x00,0x00,0x00]

flat_atomic_csub_u32 v1, v[0:1], v2 th:TH_ATOMIC_RETURN
// GFX13: flat_atomic_sub_clamp_u32 v1, v[0:1], v2 th:TH_ATOMIC_RETURN ; encoding: [0x7c,0x00,0x0d,0xec,0x01,0x00,0x10,0x01,0x00,0x00,0x00,0x00]

flat_atomic_dec v[0:1], v2
// GFX13: flat_atomic_dec_u32 v[0:1], v2          ; encoding: [0x7c,0x40,0x0f,0xec,0x00,0x00,0x00,0x01,0x00,0x00,0x00,0x00]

flat_atomic_dec_x2 v[0:1], v[2:3]
// GFX13: flat_atomic_dec_u64 v[0:1], v[2:3]      ; encoding: [0x7c,0x40,0x17,0xec,0x00,0x00,0x00,0x01,0x00,0x00,0x00,0x00]

flat_atomic_fmax v[0:1], v2
// GFX13: flat_atomic_max_num_f32 v[0:1], v2      ; encoding: [0x7c,0x00,0x10,0xec,0x00,0x00,0x00,0x01,0x00,0x00,0x00,0x00]

flat_atomic_fmax_x2 v[0:1], v[2:3]
// GFX13: flat_atomic_max_num_f64 v[0:1], v[2:3]  ; encoding: [0x7c,0x00,0x18,0xec,0x00,0x00,0x00,0x01,0x00,0x00,0x00,0x00]

flat_atomic_fmin v[0:1], v2
// GFX13: flat_atomic_min_num_f32 v[0:1], v2      ; encoding: [0x7c,0xc0,0x0f,0xec,0x00,0x00,0x00,0x01,0x00,0x00,0x00,0x00]

flat_atomic_fmin_x2 v[0:1], v[2:3]
// GFX13: flat_atomic_min_num_f64 v[0:1], v[2:3]  ; encoding: [0x7c,0xc0,0x17,0xec,0x00,0x00,0x00,0x01,0x00,0x00,0x00,0x00]

flat_atomic_inc v[0:1], v2
// GFX13: flat_atomic_inc_u32 v[0:1], v2          ; encoding: [0x7c,0x00,0x0f,0xec,0x00,0x00,0x00,0x01,0x00,0x00,0x00,0x00]

flat_atomic_inc_x2 v[0:1], v[2:3]
// GFX13: flat_atomic_inc_u64 v[0:1], v[2:3]      ; encoding: [0x7c,0x00,0x17,0xec,0x00,0x00,0x00,0x01,0x00,0x00,0x00,0x00]

flat_atomic_max_f32 v[0:1], v2
// GFX13: flat_atomic_max_num_f32 v[0:1], v2      ; encoding: [0x7c,0x00,0x10,0xec,0x00,0x00,0x00,0x01,0x00,0x00,0x00,0x00]

flat_atomic_min_f32 v[0:1], v2
// GFX13: flat_atomic_min_num_f32 v[0:1], v2      ; encoding: [0x7c,0xc0,0x0f,0xec,0x00,0x00,0x00,0x01,0x00,0x00,0x00,0x00]

flat_atomic_or v[0:1], v2
// GFX13: flat_atomic_or_b32 v[0:1], v2           ; encoding: [0x7c,0x80,0x0e,0xec,0x00,0x00,0x00,0x01,0x00,0x00,0x00,0x00]

flat_atomic_or_x2 v[0:1], v[2:3]
// GFX13: flat_atomic_or_b64 v[0:1], v[2:3]       ; encoding: [0x7c,0x80,0x16,0xec,0x00,0x00,0x00,0x01,0x00,0x00,0x00,0x00]

flat_atomic_smax v[0:1], v2
// GFX13: flat_atomic_max_i32 v[0:1], v2          ; encoding: [0x7c,0xc0,0x0d,0xec,0x00,0x00,0x00,0x01,0x00,0x00,0x00,0x00]

flat_atomic_smax_x2 v[0:1], v[2:3]
// GFX13: flat_atomic_max_i64 v[0:1], v[2:3]      ; encoding: [0x7c,0xc0,0x15,0xec,0x00,0x00,0x00,0x01,0x00,0x00,0x00,0x00]

flat_atomic_smin v[0:1], v2
// GFX13: flat_atomic_min_i32 v[0:1], v2          ; encoding: [0x7c,0x40,0x0d,0xec,0x00,0x00,0x00,0x01,0x00,0x00,0x00,0x00]

flat_atomic_smin_x2 v[0:1], v[2:3]
// GFX13: flat_atomic_min_i64 v[0:1], v[2:3]      ; encoding: [0x7c,0x40,0x15,0xec,0x00,0x00,0x00,0x01,0x00,0x00,0x00,0x00]

flat_atomic_sub v[0:1], v2
// GFX13: flat_atomic_sub_u32 v[0:1], v2          ; encoding: [0x7c,0xc0,0x0c,0xec,0x00,0x00,0x00,0x01,0x00,0x00,0x00,0x00]

flat_atomic_sub_x2 v[0:1], v[2:3]
// GFX13: flat_atomic_sub_u64 v[0:1], v[2:3]      ; encoding: [0x7c,0xc0,0x14,0xec,0x00,0x00,0x00,0x01,0x00,0x00,0x00,0x00]

flat_atomic_swap v[0:1], v2
// GFX13: flat_atomic_swap_b32 v[0:1], v2         ; encoding: [0x7c,0x00,0x0c,0xec,0x00,0x00,0x00,0x01,0x00,0x00,0x00,0x00]

flat_atomic_swap_x2 v[0:1], v[2:3]
// GFX13: flat_atomic_swap_b64 v[0:1], v[2:3]     ; encoding: [0x7c,0x00,0x14,0xec,0x00,0x00,0x00,0x01,0x00,0x00,0x00,0x00]

flat_atomic_umax v[0:1], v2
// GFX13: flat_atomic_max_u32 v[0:1], v2          ; encoding: [0x7c,0x00,0x0e,0xec,0x00,0x00,0x00,0x01,0x00,0x00,0x00,0x00]

flat_atomic_umax_x2 v[0:1], v[2:3]
// GFX13: flat_atomic_max_u64 v[0:1], v[2:3]      ; encoding: [0x7c,0x00,0x16,0xec,0x00,0x00,0x00,0x01,0x00,0x00,0x00,0x00]

flat_atomic_umin v[0:1], v2
// GFX13: flat_atomic_min_u32 v[0:1], v2          ; encoding: [0x7c,0x80,0x0d,0xec,0x00,0x00,0x00,0x01,0x00,0x00,0x00,0x00]

flat_atomic_umin_x2 v[0:1], v[2:3]
// GFX13: flat_atomic_min_u64 v[0:1], v[2:3]      ; encoding: [0x7c,0x80,0x15,0xec,0x00,0x00,0x00,0x01,0x00,0x00,0x00,0x00]

flat_atomic_xor v[0:1], v2
// GFX13: flat_atomic_xor_b32 v[0:1], v2          ; encoding: [0x7c,0xc0,0x0e,0xec,0x00,0x00,0x00,0x01,0x00,0x00,0x00,0x00]

flat_atomic_xor_x2 v[0:1], v[2:3]
// GFX13: flat_atomic_xor_b64 v[0:1], v[2:3]      ; encoding: [0x7c,0xc0,0x16,0xec,0x00,0x00,0x00,0x01,0x00,0x00,0x00,0x00]

flat_load_dword v2, v[0:1]
// GFX13: flat_load_b32 v2, v[0:1]                ; encoding: [0x7c,0x00,0x03,0xec,0x02,0x00,0x00,0x00,0x00,0x00,0x00,0x00]

flat_load_dwordx2 v[2:3], v[0:1]
// GFX13: flat_load_b64 v[2:3], v[0:1]            ; encoding: [0x7c,0x40,0x03,0xec,0x02,0x00,0x00,0x00,0x00,0x00,0x00,0x00]

flat_load_dwordx3 v[2:4], v[0:1]
// GFX13: flat_load_b96 v[2:4], v[0:1]            ; encoding: [0x7c,0xc0,0x03,0xec,0x02,0x00,0x00,0x00,0x00,0x00,0x00,0x00]

flat_load_dwordx4 v[2:5], v[0:1]
// GFX13: flat_load_b128 v[2:5], v[0:1]           ; encoding: [0x7c,0x80,0x03,0xec,0x02,0x00,0x00,0x00,0x00,0x00,0x00,0x00]

flat_load_sbyte v2, v[0:1]
// GFX13: flat_load_i8 v2, v[0:1]                 ; encoding: [0x7c,0x40,0x02,0xec,0x02,0x00,0x00,0x00,0x00,0x00,0x00,0x00]

flat_load_sbyte_d16 v2, v[0:1]
// GFX13: flat_load_d16_i8 v2, v[0:1]             ; encoding: [0x7c,0x80,0x08,0xec,0x02,0x00,0x00,0x00,0x00,0x00,0x00,0x00]

flat_load_sbyte_d16_hi v2, v[0:1]
// GFX13: flat_load_d16_hi_i8 v2, v[0:1]          ; encoding: [0x7c,0xc0,0x08,0xec,0x02,0x00,0x00,0x00,0x00,0x00,0x00,0x00]

flat_load_short_d16 v2, v[0:1]
// GFX13: flat_load_d16_b16 v2, v[0:1]            ; encoding: [0x7c,0x00,0x09,0xec,0x02,0x00,0x00,0x00,0x00,0x00,0x00,0x00]

flat_load_short_d16_hi v2, v[0:1]
// GFX13: flat_load_d16_hi_b16 v2, v[0:1]         ; encoding: [0x7c,0x40,0x09,0xec,0x02,0x00,0x00,0x00,0x00,0x00,0x00,0x00]

flat_load_sshort v2, v[0:1]
// GFX13: flat_load_i16 v2, v[0:1]                ; encoding: [0x7c,0xc0,0x02,0xec,0x02,0x00,0x00,0x00,0x00,0x00,0x00,0x00]

flat_load_ubyte v2, v[0:1]
// GFX13: flat_load_u8 v2, v[0:1]                 ; encoding: [0x7c,0x00,0x02,0xec,0x02,0x00,0x00,0x00,0x00,0x00,0x00,0x00]

flat_load_ubyte_d16 v2, v[0:1]
// GFX13: flat_load_d16_u8 v2, v[0:1]             ; encoding: [0x7c,0x00,0x08,0xec,0x02,0x00,0x00,0x00,0x00,0x00,0x00,0x00]

flat_load_ubyte_d16_hi v2, v[0:1]
// GFX13: flat_load_d16_hi_u8 v2, v[0:1]          ; encoding: [0x7c,0x40,0x08,0xec,0x02,0x00,0x00,0x00,0x00,0x00,0x00,0x00]

flat_load_ushort v2, v[0:1]
// GFX13: flat_load_u16 v2, v[0:1]                ; encoding: [0x7c,0x80,0x02,0xec,0x02,0x00,0x00,0x00,0x00,0x00,0x00,0x00]

flat_store_byte v[0:1], v2
// GFX13: flat_store_b8 v[0:1], v2                ; encoding: [0x7c,0x00,0x06,0xec,0x00,0x00,0x00,0x01,0x00,0x00,0x00,0x00]

flat_store_byte_d16_hi v[0:1], v2
// GFX13: flat_store_d16_hi_b8 v[0:1], v2         ; encoding: [0x7c,0x40,0x06,0xec,0x00,0x00,0x00,0x01,0x00,0x00,0x00,0x00]

flat_store_dword v[0:1], v2
// GFX13: flat_store_b32 v[0:1], v2               ; encoding: [0x7c,0x00,0x07,0xec,0x00,0x00,0x00,0x01,0x00,0x00,0x00,0x00]

flat_store_dwordx2 v[0:1], v[2:3]
// GFX13: flat_store_b64 v[0:1], v[2:3]           ; encoding: [0x7c,0x40,0x07,0xec,0x00,0x00,0x00,0x01,0x00,0x00,0x00,0x00]

flat_store_dwordx3 v[0:1], v[2:4]
// GFX13: flat_store_b96 v[0:1], v[2:4]           ; encoding: [0x7c,0xc0,0x07,0xec,0x00,0x00,0x00,0x01,0x00,0x00,0x00,0x00]

flat_store_dwordx4 v[0:1], v[2:5]
// GFX13: flat_store_b128 v[0:1], v[2:5]          ; encoding: [0x7c,0x80,0x07,0xec,0x00,0x00,0x00,0x01,0x00,0x00,0x00,0x00]

flat_store_short v[0:1], v2
// GFX13: flat_store_b16 v[0:1], v2               ; encoding: [0x7c,0x80,0x06,0xec,0x00,0x00,0x00,0x01,0x00,0x00,0x00,0x00]

flat_store_short_d16_hi v[0:1], v2
// GFX13: flat_store_d16_hi_b16 v[0:1], v2        ; encoding: [0x7c,0xc0,0x06,0xec,0x00,0x00,0x00,0x01,0x00,0x00,0x00,0x00]

global_atomic_add v0, v2, s[0:1]
// GFX13: global_atomic_add_u32 v0, v2, s[0:1]    ; encoding: [0x00,0x80,0x0c,0xee,0x00,0x00,0x00,0x01,0x00,0x00,0x00,0x00]

global_atomic_add_x2 v0, v[2:3], s[0:1]
// GFX13: global_atomic_add_u64 v0, v[2:3], s[0:1] ; encoding: [0x00,0x80,0x14,0xee,0x00,0x00,0x00,0x01,0x00,0x00,0x00,0x00]

global_atomic_and v0, v2, s[0:1]
// GFX13: global_atomic_and_b32 v0, v2, s[0:1]    ; encoding: [0x00,0x40,0x0e,0xee,0x00,0x00,0x00,0x01,0x00,0x00,0x00,0x00]

global_atomic_and_x2 v0, v[2:3], s[0:1]
// GFX13: global_atomic_and_b64 v0, v[2:3], s[0:1] ; encoding: [0x00,0x40,0x16,0xee,0x00,0x00,0x00,0x01,0x00,0x00,0x00,0x00]

global_atomic_cmpswap v0, v[2:3], s[0:1]
// GFX13: global_atomic_cmpswap_b32 v0, v[2:3], s[0:1] ; encoding: [0x00,0x40,0x0c,0xee,0x00,0x00,0x00,0x01,0x00,0x00,0x00,0x00]

global_atomic_cmpswap_x2 v0, v[2:5], s[0:1]
// GFX13: global_atomic_cmpswap_b64 v0, v[2:5], s[0:1] ; encoding: [0x00,0x40,0x14,0xee,0x00,0x00,0x00,0x01,0x00,0x00,0x00,0x00]

global_atomic_csub v1, v0, v2, s[0:1] th:TH_ATOMIC_RETURN
// GFX13: global_atomic_sub_clamp_u32 v1, v0, v2, s[0:1] th:TH_ATOMIC_RETURN ; encoding: [0x00,0x00,0x0d,0xee,0x01,0x00,0x10,0x01,0x00,0x00,0x00,0x00]

global_atomic_csub_u32 v1, v0, v2, s[0:1] th:TH_ATOMIC_RETURN
// GFX13: global_atomic_sub_clamp_u32 v1, v0, v2, s[0:1] th:TH_ATOMIC_RETURN ; encoding: [0x00,0x00,0x0d,0xee,0x01,0x00,0x10,0x01,0x00,0x00,0x00,0x00]

global_atomic_dec v0, v2, s[0:1]
// GFX13: global_atomic_dec_u32 v0, v2, s[0:1]    ; encoding: [0x00,0x40,0x0f,0xee,0x00,0x00,0x00,0x01,0x00,0x00,0x00,0x00]

global_atomic_dec_x2 v0, v[2:3], s[0:1]
// GFX13: global_atomic_dec_u64 v0, v[2:3], s[0:1] ; encoding: [0x00,0x40,0x17,0xee,0x00,0x00,0x00,0x01,0x00,0x00,0x00,0x00]

global_atomic_fmax v0, v2, s[0:1]
// GFX13: global_atomic_max_num_f32 v0, v2, s[0:1] ; encoding: [0x00,0x00,0x10,0xee,0x00,0x00,0x00,0x01,0x00,0x00,0x00,0x00]

global_atomic_fmax_x2 v0, v[2:3], s[0:1]
// GFX13: global_atomic_max_num_f64 v0, v[2:3], s[0:1] ; encoding: [0x00,0x00,0x18,0xee,0x00,0x00,0x00,0x01,0x00,0x00,0x00,0x00]

global_atomic_fmin v0, v2, s[0:1]
// GFX13: global_atomic_min_num_f32 v0, v2, s[0:1] ; encoding: [0x00,0xc0,0x0f,0xee,0x00,0x00,0x00,0x01,0x00,0x00,0x00,0x00]

global_atomic_fmin_x2 v0, v[2:3], s[0:1]
// GFX13: global_atomic_min_num_f64 v0, v[2:3], s[0:1] ; encoding: [0x00,0xc0,0x17,0xee,0x00,0x00,0x00,0x01,0x00,0x00,0x00,0x00]

global_atomic_inc v0, v2, s[0:1]
// GFX13: global_atomic_inc_u32 v0, v2, s[0:1]    ; encoding: [0x00,0x00,0x0f,0xee,0x00,0x00,0x00,0x01,0x00,0x00,0x00,0x00]

global_atomic_inc_x2 v0, v[2:3], s[0:1]
// GFX13: global_atomic_inc_u64 v0, v[2:3], s[0:1] ; encoding: [0x00,0x00,0x17,0xee,0x00,0x00,0x00,0x01,0x00,0x00,0x00,0x00]

global_atomic_max_f32 v0, v2, s[0:1]
// GFX13: global_atomic_max_num_f32 v0, v2, s[0:1] ; encoding: [0x00,0x00,0x10,0xee,0x00,0x00,0x00,0x01,0x00,0x00,0x00,0x00]

global_atomic_min_f32 v0, v2, s[0:1]
// GFX13: global_atomic_min_num_f32 v0, v2, s[0:1] ; encoding: [0x00,0xc0,0x0f,0xee,0x00,0x00,0x00,0x01,0x00,0x00,0x00,0x00]

global_atomic_or v0, v2, s[0:1]
// GFX13: global_atomic_or_b32 v0, v2, s[0:1]     ; encoding: [0x00,0x80,0x0e,0xee,0x00,0x00,0x00,0x01,0x00,0x00,0x00,0x00]

global_atomic_or_x2 v0, v[2:3], s[0:1]
// GFX13: global_atomic_or_b64 v0, v[2:3], s[0:1] ; encoding: [0x00,0x80,0x16,0xee,0x00,0x00,0x00,0x01,0x00,0x00,0x00,0x00]

global_atomic_smax v0, v2, s[0:1]
// GFX13: global_atomic_max_i32 v0, v2, s[0:1]    ; encoding: [0x00,0xc0,0x0d,0xee,0x00,0x00,0x00,0x01,0x00,0x00,0x00,0x00]

global_atomic_smax_x2 v0, v[2:3], s[0:1]
// GFX13: global_atomic_max_i64 v0, v[2:3], s[0:1] ; encoding: [0x00,0xc0,0x15,0xee,0x00,0x00,0x00,0x01,0x00,0x00,0x00,0x00]

global_atomic_smin v0, v2, s[0:1]
// GFX13: global_atomic_min_i32 v0, v2, s[0:1]    ; encoding: [0x00,0x40,0x0d,0xee,0x00,0x00,0x00,0x01,0x00,0x00,0x00,0x00]

global_atomic_smin_x2 v0, v[2:3], s[0:1]
// GFX13: global_atomic_min_i64 v0, v[2:3], s[0:1] ; encoding: [0x00,0x40,0x15,0xee,0x00,0x00,0x00,0x01,0x00,0x00,0x00,0x00]

global_atomic_sub v0, v2, s[0:1]
// GFX13: global_atomic_sub_u32 v0, v2, s[0:1]    ; encoding: [0x00,0xc0,0x0c,0xee,0x00,0x00,0x00,0x01,0x00,0x00,0x00,0x00]

global_atomic_sub_x2 v0, v[2:3], s[0:1]
// GFX13: global_atomic_sub_u64 v0, v[2:3], s[0:1] ; encoding: [0x00,0xc0,0x14,0xee,0x00,0x00,0x00,0x01,0x00,0x00,0x00,0x00]

global_atomic_swap v0, v2, s[0:1]
// GFX13: global_atomic_swap_b32 v0, v2, s[0:1]   ; encoding: [0x00,0x00,0x0c,0xee,0x00,0x00,0x00,0x01,0x00,0x00,0x00,0x00]

global_atomic_swap_x2 v0, v[2:3], s[0:1]
// GFX13: global_atomic_swap_b64 v0, v[2:3], s[0:1] ; encoding: [0x00,0x00,0x14,0xee,0x00,0x00,0x00,0x01,0x00,0x00,0x00,0x00]

global_atomic_umax v0, v2, s[0:1]
// GFX13: global_atomic_max_u32 v0, v2, s[0:1]    ; encoding: [0x00,0x00,0x0e,0xee,0x00,0x00,0x00,0x01,0x00,0x00,0x00,0x00]

global_atomic_umax_x2 v0, v[2:3], s[0:1]
// GFX13: global_atomic_max_u64 v0, v[2:3], s[0:1] ; encoding: [0x00,0x00,0x16,0xee,0x00,0x00,0x00,0x01,0x00,0x00,0x00,0x00]

global_atomic_umin v0, v2, s[0:1]
// GFX13: global_atomic_min_u32 v0, v2, s[0:1]    ; encoding: [0x00,0x80,0x0d,0xee,0x00,0x00,0x00,0x01,0x00,0x00,0x00,0x00]

global_atomic_umin_x2 v0, v[2:3], s[0:1]
// GFX13: global_atomic_min_u64 v0, v[2:3], s[0:1] ; encoding: [0x00,0x80,0x15,0xee,0x00,0x00,0x00,0x01,0x00,0x00,0x00,0x00]

global_atomic_xor v0, v2, s[0:1]
// GFX13: global_atomic_xor_b32 v0, v2, s[0:1]    ; encoding: [0x00,0xc0,0x0e,0xee,0x00,0x00,0x00,0x01,0x00,0x00,0x00,0x00]

global_atomic_xor_x2 v0, v[2:3], s[0:1]
// GFX13: global_atomic_xor_b64 v0, v[2:3], s[0:1] ; encoding: [0x00,0xc0,0x16,0xee,0x00,0x00,0x00,0x01,0x00,0x00,0x00,0x00]

global_load_dword v2, v[0:1], off
// GFX13: global_load_b32 v2, v[0:1], off         ; encoding: [0x7c,0x00,0x03,0xee,0x02,0x00,0x00,0x00,0x00,0x00,0x00,0x00]

global_load_dword_addtid v0, s[0:1]
// GFX13: global_load_addtid_b32 v0, s[0:1]       ; encoding: [0x00,0x80,0x05,0xee,0x00,0x00,0x00,0x00,0x00,0x00,0x00,0x00]

global_load_dwordx2 v[2:3], v[0:1], off
// GFX13: global_load_b64 v[2:3], v[0:1], off     ; encoding: [0x7c,0x40,0x03,0xee,0x02,0x00,0x00,0x00,0x00,0x00,0x00,0x00]

global_load_dwordx3 v[2:4], v[0:1], off
// GFX13: global_load_b96 v[2:4], v[0:1], off     ; encoding: [0x7c,0xc0,0x03,0xee,0x02,0x00,0x00,0x00,0x00,0x00,0x00,0x00]

global_load_dwordx4 v[2:5], v[0:1], off
// GFX13: global_load_b128 v[2:5], v[0:1], off    ; encoding: [0x7c,0x80,0x03,0xee,0x02,0x00,0x00,0x00,0x00,0x00,0x00,0x00]

global_load_sbyte v2, v[0:1], off
// GFX13: global_load_i8 v2, v[0:1], off          ; encoding: [0x7c,0x40,0x02,0xee,0x02,0x00,0x00,0x00,0x00,0x00,0x00,0x00]

global_load_sbyte_d16 v2, v[0:1], off
// GFX13: global_load_d16_i8 v2, v[0:1], off      ; encoding: [0x7c,0x80,0x08,0xee,0x02,0x00,0x00,0x00,0x00,0x00,0x00,0x00]

global_load_sbyte_d16_hi v2, v[0:1], off
// GFX13: global_load_d16_hi_i8 v2, v[0:1], off   ; encoding: [0x7c,0xc0,0x08,0xee,0x02,0x00,0x00,0x00,0x00,0x00,0x00,0x00]

global_load_short_d16 v2, v[0:1], off
// GFX13: global_load_d16_b16 v2, v[0:1], off     ; encoding: [0x7c,0x00,0x09,0xee,0x02,0x00,0x00,0x00,0x00,0x00,0x00,0x00]

global_load_short_d16_hi v2, v[0:1], off
// GFX13: global_load_d16_hi_b16 v2, v[0:1], off  ; encoding: [0x7c,0x40,0x09,0xee,0x02,0x00,0x00,0x00,0x00,0x00,0x00,0x00]

global_load_sshort v2, v[0:1], off
// GFX13: global_load_i16 v2, v[0:1], off         ; encoding: [0x7c,0xc0,0x02,0xee,0x02,0x00,0x00,0x00,0x00,0x00,0x00,0x00]

global_load_tr_b64 v[1:2], v0, s[0:1]
// GFX13: global_load_tr8_b64 v[1:2], v0, s[0:1]  ; encoding: [0x00,0x80,0x11,0xee,0x01,0x00,0x00,0x00,0x00,0x00,0x00,0x00]

global_load_tr_b128 v[1:4], v0, s[0:1]
// GFX13: global_load_tr16_b128 v[1:4], v0, s[0:1] ; encoding: [0x00,0x40,0x11,0xee,0x01,0x00,0x00,0x00,0x00,0x00,0x00,0x00]

global_load_ubyte v2, v[0:1], off
// GFX13: global_load_u8 v2, v[0:1], off          ; encoding: [0x7c,0x00,0x02,0xee,0x02,0x00,0x00,0x00,0x00,0x00,0x00,0x00]

global_load_ubyte_d16 v2, v[0:1], off
// GFX13: global_load_d16_u8 v2, v[0:1], off      ; encoding: [0x7c,0x00,0x08,0xee,0x02,0x00,0x00,0x00,0x00,0x00,0x00,0x00]

global_load_ubyte_d16_hi v2, v[0:1], off
// GFX13: global_load_d16_hi_u8 v2, v[0:1], off   ; encoding: [0x7c,0x40,0x08,0xee,0x02,0x00,0x00,0x00,0x00,0x00,0x00,0x00]

global_load_ushort v2, v[0:1], off
// GFX13: global_load_u16 v2, v[0:1], off         ; encoding: [0x7c,0x80,0x02,0xee,0x02,0x00,0x00,0x00,0x00,0x00,0x00,0x00]

global_store_byte v0, v1, s[0:1]
// GFX13: global_store_b8 v0, v1, s[0:1]          ; encoding: [0x00,0x00,0x06,0xee,0x00,0x00,0x80,0x00,0x00,0x00,0x00,0x00]

global_store_byte_d16_hi v0, v1, s[0:1]
// GFX13: global_store_d16_hi_b8 v0, v1, s[0:1]   ; encoding: [0x00,0x40,0x06,0xee,0x00,0x00,0x80,0x00,0x00,0x00,0x00,0x00]

global_store_dword v0, v1, s[0:1]
// GFX13: global_store_b32 v0, v1, s[0:1]         ; encoding: [0x00,0x00,0x07,0xee,0x00,0x00,0x80,0x00,0x00,0x00,0x00,0x00]

global_store_dword_addtid v0, s[0:1]
// GFX13: global_store_addtid_b32 v0, s[0:1]      ; encoding: [0x00,0xc0,0x05,0xee,0x00,0x00,0x00,0x00,0x00,0x00,0x00,0x00]

global_store_dwordx2 v0, v[1:2], s[0:1]
// GFX13: global_store_b64 v0, v[1:2], s[0:1]     ; encoding: [0x00,0x40,0x07,0xee,0x00,0x00,0x80,0x00,0x00,0x00,0x00,0x00]

global_store_dwordx3 v0, v[1:3], s[0:1]
// GFX13: global_store_b96 v0, v[1:3], s[0:1]     ; encoding: [0x00,0xc0,0x07,0xee,0x00,0x00,0x80,0x00,0x00,0x00,0x00,0x00]

global_store_dwordx4 v0, v[1:4], s[0:1]
// GFX13: global_store_b128 v0, v[1:4], s[0:1]    ; encoding: [0x00,0x80,0x07,0xee,0x00,0x00,0x80,0x00,0x00,0x00,0x00,0x00]

global_store_short v0, v1, s[0:1]
// GFX13: global_store_b16 v0, v1, s[0:1]         ; encoding: [0x00,0x80,0x06,0xee,0x00,0x00,0x80,0x00,0x00,0x00,0x00,0x00]

global_store_short_d16_hi v0, v1, s[0:1]
// GFX13: global_store_d16_hi_b16 v0, v1, s[0:1]  ; encoding: [0x00,0xc0,0x06,0xee,0x00,0x00,0x80,0x00,0x00,0x00,0x00,0x00]

scratch_load_dword v1, v0, s0
// GFX13: scratch_load_b32 v1, v0, s0             ; encoding: [0x00,0x00,0x03,0xed,0x01,0x00,0x02,0x00,0x00,0x00,0x00,0x00]

scratch_load_dwordx2 v[1:2], v0, s0
// GFX13: scratch_load_b64 v[1:2], v0, s0         ; encoding: [0x00,0x40,0x03,0xed,0x01,0x00,0x02,0x00,0x00,0x00,0x00,0x00]

scratch_load_dwordx3 v[1:3], v0, s0
// GFX13: scratch_load_b96 v[1:3], v0, s0         ; encoding: [0x00,0xc0,0x03,0xed,0x01,0x00,0x02,0x00,0x00,0x00,0x00,0x00]

scratch_load_dwordx4 v[1:4], v0, s0
// GFX13: scratch_load_b128 v[1:4], v0, s0        ; encoding: [0x00,0x80,0x03,0xed,0x01,0x00,0x02,0x00,0x00,0x00,0x00,0x00]

scratch_load_sbyte v1, v0, s0
// GFX13: scratch_load_i8 v1, v0, s0              ; encoding: [0x00,0x40,0x02,0xed,0x01,0x00,0x02,0x00,0x00,0x00,0x00,0x00]

scratch_load_sbyte_d16 v1, v0, s0
// GFX13: scratch_load_d16_i8 v1, v0, s0          ; encoding: [0x00,0x80,0x08,0xed,0x01,0x00,0x02,0x00,0x00,0x00,0x00,0x00]

scratch_load_sbyte_d16_hi v1, v0, s0
// GFX13: scratch_load_d16_hi_i8 v1, v0, s0       ; encoding: [0x00,0xc0,0x08,0xed,0x01,0x00,0x02,0x00,0x00,0x00,0x00,0x00]

scratch_load_short_d16 v1, v0, s0
// GFX13: scratch_load_d16_b16 v1, v0, s0         ; encoding: [0x00,0x00,0x09,0xed,0x01,0x00,0x02,0x00,0x00,0x00,0x00,0x00]

scratch_load_short_d16_hi v1, v0, s0
// GFX13: scratch_load_d16_hi_b16 v1, v0, s0      ; encoding: [0x00,0x40,0x09,0xed,0x01,0x00,0x02,0x00,0x00,0x00,0x00,0x00]

scratch_load_sshort v1, v0, s0
// GFX13: scratch_load_i16 v1, v0, s0             ; encoding: [0x00,0xc0,0x02,0xed,0x01,0x00,0x02,0x00,0x00,0x00,0x00,0x00]

scratch_load_ubyte v1, v0, s0
// GFX13: scratch_load_u8 v1, v0, s0              ; encoding: [0x00,0x00,0x02,0xed,0x01,0x00,0x02,0x00,0x00,0x00,0x00,0x00]

scratch_load_ubyte_d16 v1, v0, s0
// GFX13: scratch_load_d16_u8 v1, v0, s0          ; encoding: [0x00,0x00,0x08,0xed,0x01,0x00,0x02,0x00,0x00,0x00,0x00,0x00]

scratch_load_ubyte_d16_hi v1, v0, s0
// GFX13: scratch_load_d16_hi_u8 v1, v0, s0       ; encoding: [0x00,0x40,0x08,0xed,0x01,0x00,0x02,0x00,0x00,0x00,0x00,0x00]

scratch_load_ushort v1, v0, s0
// GFX13: scratch_load_u16 v1, v0, s0             ; encoding: [0x00,0x80,0x02,0xed,0x01,0x00,0x02,0x00,0x00,0x00,0x00,0x00]

scratch_store_byte v0, v1, s0
// GFX13: scratch_store_b8 v0, v1, s0             ; encoding: [0x00,0x00,0x06,0xed,0x00,0x00,0x82,0x00,0x00,0x00,0x00,0x00]

scratch_store_byte_d16_hi v0, v1, s0
// GFX13: scratch_store_d16_hi_b8 v0, v1, s0      ; encoding: [0x00,0x40,0x06,0xed,0x00,0x00,0x82,0x00,0x00,0x00,0x00,0x00]

scratch_store_dword v0, v1, s0
// GFX13: scratch_store_b32 v0, v1, s0            ; encoding: [0x00,0x00,0x07,0xed,0x00,0x00,0x82,0x00,0x00,0x00,0x00,0x00]

scratch_store_dwordx2 v0, v[1:2], s0
// GFX13: scratch_store_b64 v0, v[1:2], s0        ; encoding: [0x00,0x40,0x07,0xed,0x00,0x00,0x82,0x00,0x00,0x00,0x00,0x00]

scratch_store_dwordx3 v0, v[1:3], s0
// GFX13: scratch_store_b96 v0, v[1:3], s0        ; encoding: [0x00,0xc0,0x07,0xed,0x00,0x00,0x82,0x00,0x00,0x00,0x00,0x00]

scratch_store_dwordx4 v0, v[1:4], s0
// GFX13: scratch_store_b128 v0, v[1:4], s0       ; encoding: [0x00,0x80,0x07,0xed,0x00,0x00,0x82,0x00,0x00,0x00,0x00,0x00]

scratch_store_short v0, v1, s0
// GFX13: scratch_store_b16 v0, v1, s0            ; encoding: [0x00,0x80,0x06,0xed,0x00,0x00,0x82,0x00,0x00,0x00,0x00,0x00]

scratch_store_short_d16_hi v0, v1, s0
// GFX13: scratch_store_d16_hi_b16 v0, v1, s0     ; encoding: [0x00,0xc0,0x06,0xed,0x00,0x00,0x82,0x00,0x00,0x00,0x00,0x00]
